;; amdgpu-corpus repo=ROCm/rocFFT kind=compiled arch=gfx906 opt=O3
	.text
	.amdgcn_target "amdgcn-amd-amdhsa--gfx906"
	.amdhsa_code_object_version 6
	.protected	fft_rtc_fwd_len49_factors_7_7_wgs_196_tpt_7_half_op_CI_CI_sbrc_erc_z_xy_unaligned_dirReg ; -- Begin function fft_rtc_fwd_len49_factors_7_7_wgs_196_tpt_7_half_op_CI_CI_sbrc_erc_z_xy_unaligned_dirReg
	.globl	fft_rtc_fwd_len49_factors_7_7_wgs_196_tpt_7_half_op_CI_CI_sbrc_erc_z_xy_unaligned_dirReg
	.p2align	8
	.type	fft_rtc_fwd_len49_factors_7_7_wgs_196_tpt_7_half_op_CI_CI_sbrc_erc_z_xy_unaligned_dirReg,@function
fft_rtc_fwd_len49_factors_7_7_wgs_196_tpt_7_half_op_CI_CI_sbrc_erc_z_xy_unaligned_dirReg: ; @fft_rtc_fwd_len49_factors_7_7_wgs_196_tpt_7_half_op_CI_CI_sbrc_erc_z_xy_unaligned_dirReg
; %bb.0:
	s_load_dwordx8 s[8:15], s[4:5], 0x0
	s_waitcnt lgkmcnt(0)
	s_load_dwordx4 s[0:3], s[12:13], 0x8
	s_load_dwordx2 s[24:25], s[4:5], 0x20
	s_load_dwordx4 s[16:19], s[14:15], 0x0
	s_load_dword s7, s[14:15], 0x10
	s_waitcnt lgkmcnt(0)
	s_add_i32 s1, s0, -1
	s_lshr_b32 s1, s1, 2
	s_mul_hi_u32 s1, s1, 0x24924925
	s_add_i32 s3, s1, 1
	s_mul_i32 s2, s3, s2
	v_cvt_f32_u32_e32 v2, s2
	v_cvt_f32_u32_e32 v1, s3
	s_sub_i32 s12, 0, s2
	v_rcp_iflag_f32_e32 v2, v2
	v_rcp_iflag_f32_e32 v1, v1
	v_mul_f32_e32 v2, 0x4f7ffffe, v2
	v_cvt_u32_f32_e32 v2, v2
	v_mul_f32_e32 v1, 0x4f7ffffe, v1
	v_cvt_u32_f32_e32 v1, v1
	v_readfirstlane_b32 s19, v2
	s_mul_i32 s12, s12, s19
	s_mul_hi_u32 s12, s19, s12
	s_add_i32 s19, s19, s12
	s_mul_hi_u32 s12, s6, s19
	s_mul_i32 s19, s12, s2
	s_sub_i32 s19, s6, s19
	s_add_i32 s20, s12, 1
	s_sub_i32 s21, s19, s2
	s_cmp_ge_u32 s19, s2
	s_cselect_b32 s12, s20, s12
	s_cselect_b32 s19, s21, s19
	s_add_i32 s20, s12, 1
	s_cmp_ge_u32 s19, s2
	v_readfirstlane_b32 s13, v1
	s_cselect_b32 s19, s20, s12
	s_not_b32 s1, s1
	s_mul_i32 s1, s1, s13
	s_mul_i32 s2, s19, s2
	s_mul_hi_u32 s1, s13, s1
	s_sub_i32 s2, s6, s2
	s_add_i32 s13, s13, s1
	s_mul_hi_u32 s1, s2, s13
	s_mul_i32 s12, s1, s3
	s_sub_i32 s2, s2, s12
	s_add_i32 s20, s1, 1
	s_sub_i32 s12, s2, s3
	s_cmp_ge_u32 s2, s3
	s_cselect_b32 s1, s20, s1
	s_cselect_b32 s2, s12, s2
	s_add_i32 s12, s1, 1
	s_cmp_ge_u32 s2, s3
	s_cselect_b32 s26, s12, s1
	s_mul_hi_u32 s1, s6, s13
	s_mul_i32 s1, s1, s3
	s_sub_i32 s1, s6, s1
	s_sub_i32 s2, s1, s3
	s_cmp_ge_u32 s1, s3
	s_cselect_b32 s1, s2, s1
	s_sub_i32 s2, s1, s3
	s_cmp_ge_u32 s1, s3
	s_cselect_b32 s1, s2, s1
	s_mul_i32 s1, s1, 28
	s_mul_i32 s2, s26, s7
	;; [unrolled: 1-line block ×3, first 2 shown]
	s_add_i32 s27, s3, s2
	s_lshl_b64 s[6:7], s[10:11], 3
	s_add_u32 s10, s14, s6
	s_addc_u32 s11, s15, s7
	s_load_dwordx2 s[22:23], s[10:11], 0x0
	s_load_dwordx2 s[20:21], s[4:5], 0x58
	s_load_dwordx4 s[12:15], s[24:25], 0x0
	s_load_dwordx2 s[2:3], s[24:25], 0x10
	v_mul_u32_u24_e32 v1, 0x53a, v0
	s_waitcnt lgkmcnt(0)
	s_mul_i32 s3, s23, s19
	s_mul_hi_u32 s10, s22, s19
	s_add_i32 s10, s10, s3
	s_mul_i32 s3, s22, s19
	s_add_u32 s22, s3, s27
	s_addc_u32 s23, s10, 0
	s_add_u32 s6, s24, s6
	s_addc_u32 s7, s25, s7
	s_load_dwordx2 s[10:11], s[6:7], 0x0
	s_add_i32 s3, s1, 28
	s_cmp_le_u32 s3, s0
	v_lshrrev_b32_e32 v1, 16, v1
	s_cselect_b64 s[6:7], -1, 0
	v_mul_lo_u16_e32 v2, 49, v1
	v_sub_u16_e32 v2, v0, v2
	s_mov_b64 s[24:25], -1
	s_and_b64 vcc, exec, s[6:7]
	s_cbranch_vccz .LBB0_2
; %bb.1:
	v_mad_u64_u32 v[3:4], s[24:25], s16, v2, 0
	v_mul_lo_u32 v5, s18, v1
	v_mov_b32_e32 v6, 0
	v_mad_u64_u32 v[7:8], s[24:25], s17, v2, v[4:5]
	s_lshl_b64 s[24:25], s[22:23], 2
	s_add_u32 s3, s20, s24
	v_mov_b32_e32 v4, v7
	v_lshlrev_b64 v[3:4], 2, v[3:4]
	s_addc_u32 s15, s21, s25
	v_mov_b32_e32 v7, s15
	v_add_co_u32_e32 v17, vcc, s3, v3
	v_addc_co_u32_e32 v18, vcc, v7, v4, vcc
	v_lshlrev_b64 v[3:4], 2, v[5:6]
	s_lshl_b32 s3, s18, 2
	v_add_u32_e32 v5, s3, v5
	v_add_co_u32_e32 v3, vcc, v17, v3
	v_lshlrev_b64 v[7:8], 2, v[5:6]
	v_addc_co_u32_e32 v4, vcc, v18, v4, vcc
	v_add_u32_e32 v5, s3, v5
	v_add_co_u32_e32 v7, vcc, v17, v7
	v_lshlrev_b64 v[9:10], 2, v[5:6]
	v_addc_co_u32_e32 v8, vcc, v18, v8, vcc
	;; [unrolled: 4-line block ×6, first 2 shown]
	v_add_co_u32_e32 v5, vcc, v17, v5
	v_addc_co_u32_e32 v6, vcc, v18, v6, vcc
	global_load_dword v17, v[3:4], off
	global_load_dword v18, v[7:8], off
	;; [unrolled: 1-line block ×7, first 2 shown]
	v_mul_u32_u24_e32 v3, 0xc8, v1
	v_lshlrev_b32_e32 v4, 2, v2
	v_add3_u32 v3, 0, v3, v4
	v_add_u32_e32 v4, 0x600, v3
	v_add_u32_e32 v5, 0xc00, v3
	s_mov_b64 s[24:25], 0
	s_waitcnt vmcnt(5)
	ds_write2_b32 v3, v17, v18 offset1:200
	s_waitcnt vmcnt(3)
	ds_write2_b32 v4, v19, v20 offset0:16 offset1:216
	s_waitcnt vmcnt(1)
	ds_write2_b32 v5, v21, v22 offset0:32 offset1:232
	s_waitcnt vmcnt(0)
	ds_write_b32 v3, v23 offset:4800
.LBB0_2:
	s_load_dwordx2 s[4:5], s[4:5], 0x60
	s_andn2_b64 vcc, exec, s[24:25]
	s_cbranch_vccnz .LBB0_7
; %bb.3:
	v_add_u32_e32 v3, s1, v1
	v_cmp_gt_u32_e32 vcc, s0, v3
	s_and_saveexec_b64 s[24:25], vcc
	s_cbranch_execz .LBB0_6
; %bb.4:
	v_mad_u64_u32 v[4:5], s[28:29], s16, v2, 0
	s_lshl_b64 s[22:23], s[22:23], 2
	s_add_u32 s3, s20, s22
	v_mad_u64_u32 v[5:6], s[16:17], s17, v2, v[5:6]
	s_addc_u32 s15, s21, s23
	v_mov_b32_e32 v6, s15
	v_lshlrev_b64 v[4:5], 2, v[4:5]
	v_lshlrev_b32_e32 v2, 2, v2
	v_add_co_u32_e32 v4, vcc, s3, v4
	v_addc_co_u32_e32 v5, vcc, v6, v5, vcc
	v_mul_u32_u24_e32 v6, 0xc8, v1
	v_mul_lo_u32 v1, v1, s18
	v_add3_u32 v6, v6, v2, 0
	s_lshl_b32 s3, s18, 2
	s_mov_b64 s[16:17], 0
	v_mov_b32_e32 v2, 0
.LBB0_5:                                ; =>This Inner Loop Header: Depth=1
	v_lshlrev_b64 v[7:8], 2, v[1:2]
	v_add_u32_e32 v3, 4, v3
	v_add_co_u32_e32 v7, vcc, v4, v7
	v_addc_co_u32_e32 v8, vcc, v5, v8, vcc
	global_load_dword v7, v[7:8], off
	v_cmp_le_u32_e32 vcc, s0, v3
	v_add_u32_e32 v1, s3, v1
	s_or_b64 s[16:17], vcc, s[16:17]
	s_waitcnt vmcnt(0)
	ds_write_b32 v6, v7
	v_add_u32_e32 v6, 0x320, v6
	s_andn2_b64 exec, exec, s[16:17]
	s_cbranch_execnz .LBB0_5
.LBB0_6:
	s_or_b64 exec, exec, s[24:25]
.LBB0_7:
	s_movk_i32 s3, 0x2493
	v_mul_u32_u24_sdwa v1, v0, s3 dst_sel:DWORD dst_unused:UNUSED_PAD src0_sel:WORD_0 src1_sel:DWORD
	v_add_u32_sdwa v1, s1, v1 dst_sel:DWORD dst_unused:UNUSED_PAD src0_sel:DWORD src1_sel:WORD_1
	v_lshrrev_b32_e32 v2, 2, v1
	s_mov_b32 s3, 0x24924925
	v_mul_hi_u32 v2, v2, s3
	v_mul_hi_u32 v3, v0, s3
	s_waitcnt lgkmcnt(0)
	s_barrier
	v_mul_lo_u32 v2, v2, 28
	v_mul_u32_u24_e32 v3, 7, v3
	v_sub_u32_e32 v7, v0, v3
	v_lshlrev_b32_e32 v6, 2, v7
	v_sub_u32_e32 v1, v1, v2
	v_mul_u32_u24_e32 v1, 50, v1
	v_lshlrev_b32_e32 v5, 2, v1
	v_add3_u32 v11, 0, v6, v5
	ds_read2_b32 v[1:2], v11 offset0:7 offset1:14
	ds_read2_b32 v[3:4], v11 offset0:35 offset1:42
	v_add3_u32 v12, 0, v5, v6
	ds_read2_b32 v[5:6], v11 offset0:21 offset1:28
	ds_read_b32 v8, v12
	s_movk_i32 s3, 0x3a52
	s_waitcnt lgkmcnt(2)
	v_pk_add_f16 v10, v1, v4
	v_pk_add_f16 v1, v1, v4 neg_lo:[0,1] neg_hi:[0,1]
	v_pk_add_f16 v4, v2, v3
	v_pk_add_f16 v2, v2, v3 neg_lo:[0,1] neg_hi:[0,1]
	s_waitcnt lgkmcnt(1)
	v_pk_add_f16 v3, v5, v6
	v_pk_add_f16 v5, v6, v5 neg_lo:[0,1] neg_hi:[0,1]
	v_pk_add_f16 v6, v4, v10
	v_pk_add_f16 v13, v4, v10 neg_lo:[0,1] neg_hi:[0,1]
	v_pk_add_f16 v10, v10, v3 neg_lo:[0,1] neg_hi:[0,1]
	v_pk_add_f16 v14, v5, v2 op_sel:[1,1] op_sel_hi:[0,0]
	v_pk_add_f16 v15, v1, v5 op_sel:[1,1] op_sel_hi:[0,0] neg_lo:[0,1] neg_hi:[0,1]
	v_pk_add_f16 v16, v2, v1 op_sel:[1,1] op_sel_hi:[0,0] neg_lo:[0,1] neg_hi:[0,1]
	v_pk_add_f16 v6, v3, v6
	s_movk_i32 s17, 0x39e0
	s_movk_i32 s15, 0x3574
	;; [unrolled: 1-line block ×3, first 2 shown]
	v_pk_add_f16 v1, v14, v1 op_sel:[0,1] op_sel_hi:[1,0]
	s_waitcnt lgkmcnt(0)
	v_pk_add_f16 v8, v6, v8
	v_pk_mul_f16 v10, v10, s3 op_sel_hi:[1,0]
	v_pk_mul_f16 v14, v13, s17 op_sel_hi:[1,0]
	;; [unrolled: 1-line block ×4, first 2 shown]
	s_mov_b32 s20, 0xbcab
	v_pk_add_f16 v3, v3, v4 neg_lo:[0,1] neg_hi:[0,1]
	v_pk_add_f16 v2, v5, v2 op_sel:[1,1] op_sel_hi:[0,0] neg_lo:[0,1] neg_hi:[0,1]
	s_movk_i32 s21, 0x2b26
	s_mov_b32 s22, 0xb846
	v_pk_fma_f16 v6, v6, s20, v8 op_sel_hi:[1,0,1]
	v_pk_fma_f16 v13, v13, s17, v10 op_sel_hi:[1,0,1] neg_lo:[1,0,1] neg_hi:[1,0,1]
	v_pk_fma_f16 v15, v15, s15, v16 op_sel_hi:[1,0,1] neg_lo:[1,0,1] neg_hi:[1,0,1]
	s_movk_i32 s3, 0x370e
	v_pk_fma_f16 v4, v3, s21, v14 op_sel_hi:[1,0,1] neg_lo:[1,0,0] neg_hi:[1,0,0]
	v_pk_fma_f16 v5, v2, s22, v16 op_sel_hi:[1,0,1] neg_lo:[1,0,0] neg_hi:[1,0,0]
	v_pk_fma_f16 v3, v3, s21, v10 op_sel_hi:[1,0,1]
	v_pk_fma_f16 v2, v2, s22, v17 op_sel_hi:[1,0,1]
	v_mad_u32_u24 v9, v7, 24, v11
	v_pk_add_f16 v13, v13, v6
	v_pk_fma_f16 v15, v1, s3, v15 op_sel_hi:[1,0,1]
	v_pk_add_f16 v4, v4, v6
	v_pk_fma_f16 v5, v1, s3, v5 op_sel_hi:[1,0,1]
	;; [unrolled: 2-line block ×3, first 2 shown]
	s_mov_b32 s18, 0xffff
	v_pk_add_f16 v18, v13, v15
	v_pk_add_f16 v13, v13, v15 neg_lo:[0,1] neg_hi:[0,1]
	s_barrier
	ds_write_b32 v9, v8
	v_pk_add_f16 v8, v4, v5 neg_lo:[0,1] neg_hi:[0,1]
	v_pk_add_f16 v4, v4, v5
	v_pk_add_f16 v2, v3, v1
	v_pk_add_f16 v1, v3, v1 neg_lo:[0,1] neg_hi:[0,1]
	v_bfi_b32 v15, s18, v18, v13
	v_bfi_b32 v5, s18, v8, v4
	;; [unrolled: 1-line block ×5, first 2 shown]
	ds_write2_b32 v9, v5, v4 offset0:3 offset1:4
	v_bfi_b32 v4, s18, v13, v18
	ds_write2_b32 v9, v1, v15 offset0:1 offset1:2
	ds_write2_b32 v9, v4, v3 offset0:5 offset1:6
	v_mul_u32_u24_e32 v1, 6, v7
	v_lshlrev_b32_e32 v7, 2, v1
	s_waitcnt lgkmcnt(0)
	s_barrier
	global_load_dwordx4 v[1:4], v7, s[8:9]
	global_load_dwordx2 v[5:6], v7, s[8:9] offset:16
	ds_read2_b32 v[7:8], v11 offset0:7 offset1:14
	ds_read2_b32 v[9:10], v11 offset0:21 offset1:28
	s_mul_i32 s8, s13, s1
	s_mul_hi_u32 s9, s12, s1
	s_mul_i32 s26, s26, s14
	s_waitcnt lgkmcnt(1)
	v_lshrrev_b32_e32 v13, 16, v7
	v_lshrrev_b32_e32 v14, 16, v8
	s_waitcnt lgkmcnt(0)
	v_lshrrev_b32_e32 v15, 16, v9
	v_lshrrev_b32_e32 v16, 16, v10
	s_add_i32 s9, s9, s8
	s_mul_i32 s8, s12, s1
	s_add_u32 s8, s8, s26
	s_mul_i32 s11, s11, s19
	s_mul_hi_u32 s14, s10, s19
	s_addc_u32 s9, s9, 0
	s_add_i32 s14, s14, s11
	s_mul_i32 s10, s10, s19
	s_add_u32 s8, s8, s10
	s_mov_b32 s10, 0xb9e0
	s_addc_u32 s9, s9, s14
	s_andn2_b64 vcc, exec, s[6:7]
	s_mov_b64 s[6:7], -1
	s_waitcnt vmcnt(1)
	v_mul_f16_sdwa v17, v1, v13 dst_sel:DWORD dst_unused:UNUSED_PAD src0_sel:WORD_1 src1_sel:DWORD
	v_mul_f16_sdwa v18, v1, v7 dst_sel:DWORD dst_unused:UNUSED_PAD src0_sel:WORD_1 src1_sel:DWORD
	;; [unrolled: 1-line block ×3, first 2 shown]
	v_fma_f16 v7, v1, v7, -v17
	v_fma_f16 v17, v2, v8, -v19
	v_mul_f16_sdwa v19, v3, v15 dst_sel:DWORD dst_unused:UNUSED_PAD src0_sel:WORD_1 src1_sel:DWORD
	v_fma_f16 v13, v1, v13, v18
	v_mul_f16_sdwa v1, v3, v9 dst_sel:DWORD dst_unused:UNUSED_PAD src0_sel:WORD_1 src1_sel:DWORD
	v_mul_f16_sdwa v8, v2, v8 dst_sel:DWORD dst_unused:UNUSED_PAD src0_sel:WORD_1 src1_sel:DWORD
	v_fma_f16 v9, v3, v9, -v19
	v_fma_f16 v3, v3, v15, v1
	v_mul_f16_sdwa v1, v4, v16 dst_sel:DWORD dst_unused:UNUSED_PAD src0_sel:WORD_1 src1_sel:DWORD
	v_fma_f16 v8, v2, v14, v8
	v_fma_f16 v14, v4, v10, -v1
	ds_read2_b32 v[1:2], v11 offset0:35 offset1:42
	ds_read_b32 v12, v12
	v_mul_f16_sdwa v10, v4, v10 dst_sel:DWORD dst_unused:UNUSED_PAD src0_sel:WORD_1 src1_sel:DWORD
	v_fma_f16 v4, v4, v16, v10
	v_add_f16_e32 v16, v3, v4
	s_waitcnt lgkmcnt(1)
	v_lshrrev_b32_e32 v10, 16, v1
	s_waitcnt vmcnt(0)
	v_mul_f16_sdwa v15, v5, v10 dst_sel:DWORD dst_unused:UNUSED_PAD src0_sel:WORD_1 src1_sel:DWORD
	v_fma_f16 v15, v5, v1, -v15
	v_mul_f16_sdwa v1, v5, v1 dst_sel:DWORD dst_unused:UNUSED_PAD src0_sel:WORD_1 src1_sel:DWORD
	v_fma_f16 v1, v5, v10, v1
	v_lshrrev_b32_e32 v5, 16, v2
	v_mul_f16_sdwa v10, v6, v5 dst_sel:DWORD dst_unused:UNUSED_PAD src0_sel:WORD_1 src1_sel:DWORD
	v_fma_f16 v10, v6, v2, -v10
	v_mul_f16_sdwa v2, v6, v2 dst_sel:DWORD dst_unused:UNUSED_PAD src0_sel:WORD_1 src1_sel:DWORD
	v_fma_f16 v2, v6, v5, v2
	v_add_f16_e32 v5, v7, v10
	v_add_f16_e32 v6, v13, v2
	v_sub_f16_e32 v7, v7, v10
	v_sub_f16_e32 v2, v13, v2
	v_add_f16_e32 v10, v17, v15
	v_add_f16_e32 v13, v8, v1
	v_sub_f16_e32 v15, v17, v15
	v_sub_f16_e32 v1, v8, v1
	v_add_f16_e32 v8, v9, v14
	v_sub_f16_e32 v9, v14, v9
	v_sub_f16_e32 v3, v4, v3
	v_add_f16_e32 v4, v10, v5
	v_add_f16_e32 v14, v13, v6
	v_sub_f16_e32 v17, v10, v5
	v_sub_f16_e32 v5, v5, v8
	;; [unrolled: 1-line block ×3, first 2 shown]
	v_add_f16_e32 v19, v9, v15
	v_add_f16_e32 v4, v8, v4
	;; [unrolled: 1-line block ×4, first 2 shown]
	v_sub_f16_e32 v18, v13, v6
	v_sub_f16_e32 v6, v6, v16
	;; [unrolled: 1-line block ×6, first 2 shown]
	v_add_f16_e32 v7, v19, v7
	v_sub_f16_e32 v19, v3, v1
	v_sub_f16_e32 v3, v2, v3
	;; [unrolled: 1-line block ×3, first 2 shown]
	v_add_f16_e32 v2, v8, v2
	s_waitcnt lgkmcnt(0)
	v_add_f16_e32 v8, v4, v12
	v_add_f16_sdwa v12, v14, v12 dst_sel:DWORD dst_unused:UNUSED_PAD src0_sel:DWORD src1_sel:WORD_1
	v_lshlrev_b32_e32 v20, 16, v12
	v_or_b32_e32 v20, v20, v8
	v_fma_f16 v4, v4, s20, v8
	v_mul_f16_e32 v5, 0x3a52, v5
	v_mul_f16_e32 v6, 0x3a52, v6
	v_fma_f16 v8, v14, s20, v12
	v_mul_f16_e32 v12, 0x2b26, v10
	v_mul_f16_e32 v14, 0x2b26, v13
	v_fma_f16 v10, v10, s21, v5
	v_fma_f16 v12, v17, s17, -v12
	v_fma_f16 v5, v17, s10, -v5
	v_mul_f16_e32 v16, 0xb846, v16
	v_mul_f16_e32 v17, 0xb846, v19
	v_fma_f16 v13, v13, s21, v6
	v_fma_f16 v14, v18, s17, -v14
	v_fma_f16 v6, v18, s10, -v6
	v_mul_f16_e32 v18, 0x3b00, v15
	s_mov_b32 s10, 0xb574
	v_fma_f16 v15, v15, s16, -v16
	v_fma_f16 v16, v9, s15, v16
	v_fma_f16 v9, v9, s10, -v18
	v_mul_f16_e32 v18, 0x3b00, v1
	v_fma_f16 v1, v1, s16, -v17
	v_fma_f16 v17, v3, s15, v17
	v_fma_f16 v3, v3, s10, -v18
	v_add_f16_e32 v10, v10, v4
	v_add_f16_e32 v13, v13, v8
	v_add_f16_e32 v12, v12, v4
	v_add_f16_e32 v14, v14, v8
	v_add_f16_e32 v4, v5, v4
	v_add_f16_e32 v5, v6, v8
	v_fma_f16 v6, v7, s3, v16
	v_fma_f16 v8, v2, s3, v17
	;; [unrolled: 1-line block ×6, first 2 shown]
	v_add_f16_e32 v3, v8, v10
	v_sub_f16_e32 v9, v13, v6
	v_add_f16_e32 v16, v2, v4
	v_sub_f16_e32 v17, v5, v7
	v_sub_f16_e32 v18, v12, v1
	v_add_f16_e32 v1, v1, v12
	v_add_f16_e32 v12, v15, v14
	v_pack_b32_f16 v3, v3, v9
	v_sub_f16_e32 v2, v4, v2
	v_add_f16_e32 v4, v7, v5
	s_barrier
	ds_write2_b32 v11, v20, v3 offset1:7
	v_pack_b32_f16 v3, v16, v17
	v_pack_b32_f16 v7, v18, v12
	s_mov_b32 s3, 0x924924a
	ds_write2_b32 v11, v3, v7 offset0:14 offset1:21
	v_mul_hi_u32 v3, v0, s3
	v_sub_f16_e32 v14, v14, v15
	v_sub_f16_e32 v5, v10, v8
	v_add_f16_e32 v6, v6, v13
	v_pack_b32_f16 v1, v1, v14
	v_pack_b32_f16 v2, v2, v4
	ds_write2_b32 v11, v1, v2 offset0:28 offset1:35
	v_pack_b32_f16 v1, v5, v6
	ds_write_b32 v11, v1 offset:168
	v_mul_u32_u24_e32 v1, 28, v3
	v_sub_u32_e32 v4, v0, v1
	s_waitcnt lgkmcnt(0)
	s_barrier
	s_cbranch_vccnz .LBB0_11
; %bb.8:
	v_mad_u64_u32 v[6:7], s[6:7], s12, v4, 0
	v_mul_lo_u32 v1, v3, s2
	v_mul_i32_i24_e32 v5, 0xc8, v4
	v_mov_b32_e32 v2, v7
	v_mad_u64_u32 v[7:8], s[6:7], s13, v4, v[2:3]
	s_lshl_b64 s[6:7], s[8:9], 2
	v_lshlrev_b32_e32 v8, 2, v3
	s_add_u32 s3, s4, s6
	v_lshlrev_b64 v[6:7], 2, v[6:7]
	v_add3_u32 v5, 0, v5, v8
	s_addc_u32 s6, s5, s7
	v_mov_b32_e32 v2, 0
	v_mov_b32_e32 v8, s6
	v_add_co_u32_e32 v6, vcc, s3, v6
	ds_read2_b32 v[10:11], v5 offset1:7
	v_addc_co_u32_e32 v7, vcc, v8, v7, vcc
	v_lshlrev_b64 v[8:9], 2, v[1:2]
	s_mul_i32 s3, s2, 7
	v_add_co_u32_e32 v8, vcc, v6, v8
	v_addc_co_u32_e32 v9, vcc, v7, v9, vcc
	v_add_u32_e32 v1, s3, v1
	s_waitcnt lgkmcnt(0)
	global_store_dword v[8:9], v10, off
	v_lshlrev_b64 v[8:9], 2, v[1:2]
	ds_read2_b32 v[12:13], v5 offset0:14 offset1:21
	v_add_co_u32_e32 v8, vcc, v6, v8
	v_addc_co_u32_e32 v9, vcc, v7, v9, vcc
	v_add_u32_e32 v1, s3, v1
	global_store_dword v[8:9], v11, off
	v_lshlrev_b64 v[8:9], 2, v[1:2]
	v_add_u32_e32 v1, s3, v1
	v_add_co_u32_e32 v8, vcc, v6, v8
	v_addc_co_u32_e32 v9, vcc, v7, v9, vcc
	s_waitcnt lgkmcnt(0)
	global_store_dword v[8:9], v12, off
	v_lshlrev_b64 v[8:9], 2, v[1:2]
	v_add_u32_e32 v1, s3, v1
	v_add_co_u32_e32 v8, vcc, v6, v8
	v_addc_co_u32_e32 v9, vcc, v7, v9, vcc
	global_store_dword v[8:9], v13, off
	ds_read2_b32 v[8:9], v5 offset0:28 offset1:35
	v_lshlrev_b64 v[10:11], 2, v[1:2]
	v_add_u32_e32 v1, s3, v1
	v_add_co_u32_e32 v10, vcc, v6, v10
	v_addc_co_u32_e32 v11, vcc, v7, v11, vcc
	s_waitcnt lgkmcnt(0)
	global_store_dword v[10:11], v8, off
	v_lshlrev_b64 v[10:11], 2, v[1:2]
	v_add_u32_e32 v1, s3, v1
	v_add_co_u32_e32 v10, vcc, v6, v10
	v_addc_co_u32_e32 v11, vcc, v7, v11, vcc
	global_store_dword v[10:11], v9, off
	ds_read_b32 v10, v5 offset:168
	v_lshlrev_b64 v[8:9], 2, v[1:2]
	v_add_co_u32_e32 v8, vcc, v6, v8
	v_addc_co_u32_e32 v9, vcc, v7, v9, vcc
	v_cmp_gt_u32_e32 vcc, 28, v0
	s_waitcnt lgkmcnt(0)
	global_store_dword v[8:9], v10, off
	s_and_saveexec_b64 s[6:7], vcc
	s_cbranch_execz .LBB0_10
; %bb.9:
	v_add_u32_e32 v1, s3, v1
	ds_read_b32 v5, v5 offset:196
	v_lshlrev_b64 v[1:2], 2, v[1:2]
	v_add_co_u32_e32 v1, vcc, v6, v1
	v_addc_co_u32_e32 v2, vcc, v7, v2, vcc
	s_waitcnt lgkmcnt(0)
	global_store_dword v[1:2], v5, off
.LBB0_10:
	s_or_b64 exec, exec, s[6:7]
	s_mov_b64 s[6:7], 0
.LBB0_11:
	s_andn2_b64 vcc, exec, s[6:7]
	s_cbranch_vccnz .LBB0_15
; %bb.12:
	v_add_u32_e32 v1, s1, v4
	v_cmp_gt_u32_e32 vcc, s0, v1
	s_and_saveexec_b64 s[6:7], vcc
	s_cbranch_execz .LBB0_15
; %bb.13:
	v_mad_u64_u32 v[5:6], s[6:7], s12, v4, 0
	v_mul_lo_u32 v1, v3, s2
	s_movk_i32 s1, 0xc8
	v_mov_b32_e32 v2, v6
	v_mad_u64_u32 v[6:7], s[6:7], s13, v4, v[2:3]
	s_lshl_b64 s[6:7], s[8:9], 2
	v_mad_i32_i24 v4, v4, s1, 0
	s_add_u32 s1, s4, s6
	v_lshlrev_b64 v[5:6], 2, v[5:6]
	v_lshl_add_u32 v12, v3, 2, v4
	s_addc_u32 s3, s5, s7
	v_mov_b32_e32 v2, 0
	v_mov_b32_e32 v7, s3
	v_add_co_u32_e32 v3, vcc, s1, v5
	ds_read2_b32 v[8:9], v12 offset1:7
	v_addc_co_u32_e32 v5, vcc, v7, v6, vcc
	v_lshlrev_b64 v[6:7], 2, v[1:2]
	s_mul_i32 s1, s2, 7
	v_add_co_u32_e32 v6, vcc, v3, v6
	v_addc_co_u32_e32 v7, vcc, v5, v7, vcc
	v_add_u32_e32 v1, s1, v1
	s_waitcnt lgkmcnt(0)
	global_store_dword v[6:7], v8, off
	v_lshlrev_b64 v[6:7], 2, v[1:2]
	ds_read2_b32 v[10:11], v12 offset0:14 offset1:21
	v_add_co_u32_e32 v6, vcc, v3, v6
	v_addc_co_u32_e32 v7, vcc, v5, v7, vcc
	v_add_u32_e32 v1, s1, v1
	global_store_dword v[6:7], v9, off
	v_lshlrev_b64 v[6:7], 2, v[1:2]
	v_add_u32_e32 v1, s1, v1
	v_add_co_u32_e32 v6, vcc, v3, v6
	v_addc_co_u32_e32 v7, vcc, v5, v7, vcc
	s_waitcnt lgkmcnt(0)
	global_store_dword v[6:7], v10, off
	v_lshlrev_b64 v[6:7], 2, v[1:2]
	v_add_u32_e32 v1, s1, v1
	v_add_co_u32_e32 v6, vcc, v3, v6
	v_addc_co_u32_e32 v7, vcc, v5, v7, vcc
	global_store_dword v[6:7], v11, off
	ds_read2_b32 v[6:7], v12 offset0:28 offset1:35
	v_lshlrev_b64 v[8:9], 2, v[1:2]
	v_add_u32_e32 v1, s1, v1
	v_add_co_u32_e32 v8, vcc, v3, v8
	v_addc_co_u32_e32 v9, vcc, v5, v9, vcc
	s_waitcnt lgkmcnt(0)
	global_store_dword v[8:9], v6, off
	v_lshlrev_b64 v[8:9], 2, v[1:2]
	v_add_u32_e32 v1, s1, v1
	v_add_co_u32_e32 v8, vcc, v3, v8
	v_addc_co_u32_e32 v9, vcc, v5, v9, vcc
	global_store_dword v[8:9], v7, off
	ds_read_b32 v8, v12 offset:168
	v_lshlrev_b64 v[6:7], 2, v[1:2]
	s_lshr_b32 s2, s0, 2
	s_mul_hi_u32 s2, s2, 0x24924925
	v_add_co_u32_e32 v6, vcc, v3, v6
	s_mul_i32 s2, s2, 28
	v_addc_co_u32_e32 v7, vcc, v5, v7, vcc
	s_sub_i32 s0, s0, s2
	v_cmp_gt_u32_e32 vcc, s0, v0
	s_waitcnt lgkmcnt(0)
	global_store_dword v[6:7], v8, off
	s_and_b64 exec, exec, vcc
	s_cbranch_execz .LBB0_15
; %bb.14:
	v_add_u32_e32 v1, s1, v1
	ds_read_b32 v4, v4 offset:196
	v_lshlrev_b64 v[0:1], 2, v[1:2]
	v_add_co_u32_e32 v0, vcc, v3, v0
	v_addc_co_u32_e32 v1, vcc, v5, v1, vcc
	s_waitcnt lgkmcnt(0)
	global_store_dword v[0:1], v4, off
.LBB0_15:
	s_endpgm
	.section	.rodata,"a",@progbits
	.p2align	6, 0x0
	.amdhsa_kernel fft_rtc_fwd_len49_factors_7_7_wgs_196_tpt_7_half_op_CI_CI_sbrc_erc_z_xy_unaligned_dirReg
		.amdhsa_group_segment_fixed_size 0
		.amdhsa_private_segment_fixed_size 0
		.amdhsa_kernarg_size 104
		.amdhsa_user_sgpr_count 6
		.amdhsa_user_sgpr_private_segment_buffer 1
		.amdhsa_user_sgpr_dispatch_ptr 0
		.amdhsa_user_sgpr_queue_ptr 0
		.amdhsa_user_sgpr_kernarg_segment_ptr 1
		.amdhsa_user_sgpr_dispatch_id 0
		.amdhsa_user_sgpr_flat_scratch_init 0
		.amdhsa_user_sgpr_private_segment_size 0
		.amdhsa_uses_dynamic_stack 0
		.amdhsa_system_sgpr_private_segment_wavefront_offset 0
		.amdhsa_system_sgpr_workgroup_id_x 1
		.amdhsa_system_sgpr_workgroup_id_y 0
		.amdhsa_system_sgpr_workgroup_id_z 0
		.amdhsa_system_sgpr_workgroup_info 0
		.amdhsa_system_vgpr_workitem_id 0
		.amdhsa_next_free_vgpr 24
		.amdhsa_next_free_sgpr 30
		.amdhsa_reserve_vcc 1
		.amdhsa_reserve_flat_scratch 0
		.amdhsa_float_round_mode_32 0
		.amdhsa_float_round_mode_16_64 0
		.amdhsa_float_denorm_mode_32 3
		.amdhsa_float_denorm_mode_16_64 3
		.amdhsa_dx10_clamp 1
		.amdhsa_ieee_mode 1
		.amdhsa_fp16_overflow 0
		.amdhsa_exception_fp_ieee_invalid_op 0
		.amdhsa_exception_fp_denorm_src 0
		.amdhsa_exception_fp_ieee_div_zero 0
		.amdhsa_exception_fp_ieee_overflow 0
		.amdhsa_exception_fp_ieee_underflow 0
		.amdhsa_exception_fp_ieee_inexact 0
		.amdhsa_exception_int_div_zero 0
	.end_amdhsa_kernel
	.text
.Lfunc_end0:
	.size	fft_rtc_fwd_len49_factors_7_7_wgs_196_tpt_7_half_op_CI_CI_sbrc_erc_z_xy_unaligned_dirReg, .Lfunc_end0-fft_rtc_fwd_len49_factors_7_7_wgs_196_tpt_7_half_op_CI_CI_sbrc_erc_z_xy_unaligned_dirReg
                                        ; -- End function
	.section	.AMDGPU.csdata,"",@progbits
; Kernel info:
; codeLenInByte = 3340
; NumSgprs: 34
; NumVgprs: 24
; ScratchSize: 0
; MemoryBound: 0
; FloatMode: 240
; IeeeMode: 1
; LDSByteSize: 0 bytes/workgroup (compile time only)
; SGPRBlocks: 4
; VGPRBlocks: 5
; NumSGPRsForWavesPerEU: 34
; NumVGPRsForWavesPerEU: 24
; Occupancy: 10
; WaveLimiterHint : 1
; COMPUTE_PGM_RSRC2:SCRATCH_EN: 0
; COMPUTE_PGM_RSRC2:USER_SGPR: 6
; COMPUTE_PGM_RSRC2:TRAP_HANDLER: 0
; COMPUTE_PGM_RSRC2:TGID_X_EN: 1
; COMPUTE_PGM_RSRC2:TGID_Y_EN: 0
; COMPUTE_PGM_RSRC2:TGID_Z_EN: 0
; COMPUTE_PGM_RSRC2:TIDIG_COMP_CNT: 0
	.type	__hip_cuid_e15eeeed7fe4858a,@object ; @__hip_cuid_e15eeeed7fe4858a
	.section	.bss,"aw",@nobits
	.globl	__hip_cuid_e15eeeed7fe4858a
__hip_cuid_e15eeeed7fe4858a:
	.byte	0                               ; 0x0
	.size	__hip_cuid_e15eeeed7fe4858a, 1

	.ident	"AMD clang version 19.0.0git (https://github.com/RadeonOpenCompute/llvm-project roc-6.4.0 25133 c7fe45cf4b819c5991fe208aaa96edf142730f1d)"
	.section	".note.GNU-stack","",@progbits
	.addrsig
	.addrsig_sym __hip_cuid_e15eeeed7fe4858a
	.amdgpu_metadata
---
amdhsa.kernels:
  - .args:
      - .actual_access:  read_only
        .address_space:  global
        .offset:         0
        .size:           8
        .value_kind:     global_buffer
      - .offset:         8
        .size:           8
        .value_kind:     by_value
      - .actual_access:  read_only
        .address_space:  global
        .offset:         16
        .size:           8
        .value_kind:     global_buffer
      - .actual_access:  read_only
        .address_space:  global
        .offset:         24
        .size:           8
        .value_kind:     global_buffer
      - .actual_access:  read_only
        .address_space:  global
        .offset:         32
        .size:           8
        .value_kind:     global_buffer
      - .offset:         40
        .size:           8
        .value_kind:     by_value
      - .actual_access:  read_only
        .address_space:  global
        .offset:         48
        .size:           8
        .value_kind:     global_buffer
      - .actual_access:  read_only
        .address_space:  global
        .offset:         56
        .size:           8
        .value_kind:     global_buffer
      - .offset:         64
        .size:           4
        .value_kind:     by_value
      - .actual_access:  read_only
        .address_space:  global
        .offset:         72
        .size:           8
        .value_kind:     global_buffer
      - .actual_access:  read_only
        .address_space:  global
        .offset:         80
        .size:           8
        .value_kind:     global_buffer
      - .actual_access:  read_only
        .address_space:  global
        .offset:         88
        .size:           8
        .value_kind:     global_buffer
      - .actual_access:  write_only
        .address_space:  global
        .offset:         96
        .size:           8
        .value_kind:     global_buffer
    .group_segment_fixed_size: 0
    .kernarg_segment_align: 8
    .kernarg_segment_size: 104
    .language:       OpenCL C
    .language_version:
      - 2
      - 0
    .max_flat_workgroup_size: 196
    .name:           fft_rtc_fwd_len49_factors_7_7_wgs_196_tpt_7_half_op_CI_CI_sbrc_erc_z_xy_unaligned_dirReg
    .private_segment_fixed_size: 0
    .sgpr_count:     34
    .sgpr_spill_count: 0
    .symbol:         fft_rtc_fwd_len49_factors_7_7_wgs_196_tpt_7_half_op_CI_CI_sbrc_erc_z_xy_unaligned_dirReg.kd
    .uniform_work_group_size: 1
    .uses_dynamic_stack: false
    .vgpr_count:     24
    .vgpr_spill_count: 0
    .wavefront_size: 64
amdhsa.target:   amdgcn-amd-amdhsa--gfx906
amdhsa.version:
  - 1
  - 2
...

	.end_amdgpu_metadata
